;; amdgpu-corpus repo=ROCm/rocFFT kind=compiled arch=gfx906 opt=O3
	.text
	.amdgcn_target "amdgcn-amd-amdhsa--gfx906"
	.amdhsa_code_object_version 6
	.protected	fft_rtc_back_len306_factors_17_2_9_wgs_238_tpt_34_halfLds_half_ip_CI_unitstride_sbrr_dirReg ; -- Begin function fft_rtc_back_len306_factors_17_2_9_wgs_238_tpt_34_halfLds_half_ip_CI_unitstride_sbrr_dirReg
	.globl	fft_rtc_back_len306_factors_17_2_9_wgs_238_tpt_34_halfLds_half_ip_CI_unitstride_sbrr_dirReg
	.p2align	8
	.type	fft_rtc_back_len306_factors_17_2_9_wgs_238_tpt_34_halfLds_half_ip_CI_unitstride_sbrr_dirReg,@function
fft_rtc_back_len306_factors_17_2_9_wgs_238_tpt_34_halfLds_half_ip_CI_unitstride_sbrr_dirReg: ; @fft_rtc_back_len306_factors_17_2_9_wgs_238_tpt_34_halfLds_half_ip_CI_unitstride_sbrr_dirReg
; %bb.0:
	s_load_dwordx2 s[12:13], s[4:5], 0x50
	s_load_dwordx4 s[8:11], s[4:5], 0x0
	s_load_dwordx2 s[2:3], s[4:5], 0x18
	v_mul_u32_u24_e32 v1, 0x788, v0
	v_lshrrev_b32_e32 v1, 16, v1
	v_mad_u64_u32 v[1:2], s[0:1], s6, 7, v[1:2]
	v_mov_b32_e32 v5, 0
	s_waitcnt lgkmcnt(0)
	v_cmp_lt_u64_e64 s[0:1], s[10:11], 2
	v_mov_b32_e32 v2, v5
	v_mov_b32_e32 v3, 0
	;; [unrolled: 1-line block ×3, first 2 shown]
	s_and_b64 vcc, exec, s[0:1]
	v_mov_b32_e32 v4, 0
	v_mov_b32_e32 v9, v1
	s_cbranch_vccnz .LBB0_8
; %bb.1:
	s_load_dwordx2 s[0:1], s[4:5], 0x10
	s_add_u32 s6, s2, 8
	s_addc_u32 s7, s3, 0
	v_mov_b32_e32 v3, 0
	v_mov_b32_e32 v8, v2
	s_waitcnt lgkmcnt(0)
	s_add_u32 s16, s0, 8
	s_mov_b64 s[14:15], 1
	v_mov_b32_e32 v4, 0
	s_addc_u32 s17, s1, 0
	v_mov_b32_e32 v7, v1
.LBB0_2:                                ; =>This Inner Loop Header: Depth=1
	s_load_dwordx2 s[18:19], s[16:17], 0x0
                                        ; implicit-def: $vgpr9_vgpr10
	s_waitcnt lgkmcnt(0)
	v_or_b32_e32 v6, s19, v8
	v_cmp_ne_u64_e32 vcc, 0, v[5:6]
	s_and_saveexec_b64 s[0:1], vcc
	s_xor_b64 s[20:21], exec, s[0:1]
	s_cbranch_execz .LBB0_4
; %bb.3:                                ;   in Loop: Header=BB0_2 Depth=1
	v_cvt_f32_u32_e32 v2, s18
	v_cvt_f32_u32_e32 v6, s19
	s_sub_u32 s0, 0, s18
	s_subb_u32 s1, 0, s19
	v_mac_f32_e32 v2, 0x4f800000, v6
	v_rcp_f32_e32 v2, v2
	v_mul_f32_e32 v2, 0x5f7ffffc, v2
	v_mul_f32_e32 v6, 0x2f800000, v2
	v_trunc_f32_e32 v6, v6
	v_mac_f32_e32 v2, 0xcf800000, v6
	v_cvt_u32_f32_e32 v6, v6
	v_cvt_u32_f32_e32 v2, v2
	v_mul_lo_u32 v9, s0, v6
	v_mul_hi_u32 v10, s0, v2
	v_mul_lo_u32 v12, s1, v2
	v_mul_lo_u32 v11, s0, v2
	v_add_u32_e32 v9, v10, v9
	v_add_u32_e32 v9, v9, v12
	v_mul_hi_u32 v10, v2, v11
	v_mul_lo_u32 v12, v2, v9
	v_mul_hi_u32 v14, v2, v9
	v_mul_hi_u32 v13, v6, v11
	v_mul_lo_u32 v11, v6, v11
	v_mul_hi_u32 v15, v6, v9
	v_add_co_u32_e32 v10, vcc, v10, v12
	v_addc_co_u32_e32 v12, vcc, 0, v14, vcc
	v_mul_lo_u32 v9, v6, v9
	v_add_co_u32_e32 v10, vcc, v10, v11
	v_addc_co_u32_e32 v10, vcc, v12, v13, vcc
	v_addc_co_u32_e32 v11, vcc, 0, v15, vcc
	v_add_co_u32_e32 v9, vcc, v10, v9
	v_addc_co_u32_e32 v10, vcc, 0, v11, vcc
	v_add_co_u32_e32 v2, vcc, v2, v9
	v_addc_co_u32_e32 v6, vcc, v6, v10, vcc
	v_mul_lo_u32 v9, s0, v6
	v_mul_hi_u32 v10, s0, v2
	v_mul_lo_u32 v11, s1, v2
	v_mul_lo_u32 v12, s0, v2
	v_add_u32_e32 v9, v10, v9
	v_add_u32_e32 v9, v9, v11
	v_mul_lo_u32 v13, v2, v9
	v_mul_hi_u32 v14, v2, v12
	v_mul_hi_u32 v15, v2, v9
	;; [unrolled: 1-line block ×3, first 2 shown]
	v_mul_lo_u32 v12, v6, v12
	v_mul_hi_u32 v10, v6, v9
	v_add_co_u32_e32 v13, vcc, v14, v13
	v_addc_co_u32_e32 v14, vcc, 0, v15, vcc
	v_mul_lo_u32 v9, v6, v9
	v_add_co_u32_e32 v12, vcc, v13, v12
	v_addc_co_u32_e32 v11, vcc, v14, v11, vcc
	v_addc_co_u32_e32 v10, vcc, 0, v10, vcc
	v_add_co_u32_e32 v9, vcc, v11, v9
	v_addc_co_u32_e32 v10, vcc, 0, v10, vcc
	v_add_co_u32_e32 v2, vcc, v2, v9
	v_addc_co_u32_e32 v6, vcc, v6, v10, vcc
	v_mad_u64_u32 v[9:10], s[0:1], v7, v6, 0
	v_mul_hi_u32 v11, v7, v2
	v_add_co_u32_e32 v13, vcc, v11, v9
	v_addc_co_u32_e32 v14, vcc, 0, v10, vcc
	v_mad_u64_u32 v[9:10], s[0:1], v8, v2, 0
	v_mad_u64_u32 v[11:12], s[0:1], v8, v6, 0
	v_add_co_u32_e32 v2, vcc, v13, v9
	v_addc_co_u32_e32 v2, vcc, v14, v10, vcc
	v_addc_co_u32_e32 v6, vcc, 0, v12, vcc
	v_add_co_u32_e32 v2, vcc, v2, v11
	v_addc_co_u32_e32 v6, vcc, 0, v6, vcc
	v_mul_lo_u32 v11, s19, v2
	v_mul_lo_u32 v12, s18, v6
	v_mad_u64_u32 v[9:10], s[0:1], s18, v2, 0
	v_add3_u32 v10, v10, v12, v11
	v_sub_u32_e32 v11, v8, v10
	v_mov_b32_e32 v12, s19
	v_sub_co_u32_e32 v9, vcc, v7, v9
	v_subb_co_u32_e64 v11, s[0:1], v11, v12, vcc
	v_subrev_co_u32_e64 v12, s[0:1], s18, v9
	v_subbrev_co_u32_e64 v11, s[0:1], 0, v11, s[0:1]
	v_cmp_le_u32_e64 s[0:1], s19, v11
	v_cndmask_b32_e64 v13, 0, -1, s[0:1]
	v_cmp_le_u32_e64 s[0:1], s18, v12
	v_cndmask_b32_e64 v12, 0, -1, s[0:1]
	v_cmp_eq_u32_e64 s[0:1], s19, v11
	v_cndmask_b32_e64 v11, v13, v12, s[0:1]
	v_add_co_u32_e64 v12, s[0:1], 2, v2
	v_addc_co_u32_e64 v13, s[0:1], 0, v6, s[0:1]
	v_add_co_u32_e64 v14, s[0:1], 1, v2
	v_addc_co_u32_e64 v15, s[0:1], 0, v6, s[0:1]
	v_subb_co_u32_e32 v10, vcc, v8, v10, vcc
	v_cmp_ne_u32_e64 s[0:1], 0, v11
	v_cmp_le_u32_e32 vcc, s19, v10
	v_cndmask_b32_e64 v11, v15, v13, s[0:1]
	v_cndmask_b32_e64 v13, 0, -1, vcc
	v_cmp_le_u32_e32 vcc, s18, v9
	v_cndmask_b32_e64 v9, 0, -1, vcc
	v_cmp_eq_u32_e32 vcc, s19, v10
	v_cndmask_b32_e32 v9, v13, v9, vcc
	v_cmp_ne_u32_e32 vcc, 0, v9
	v_cndmask_b32_e32 v10, v6, v11, vcc
	v_cndmask_b32_e64 v6, v14, v12, s[0:1]
	v_cndmask_b32_e32 v9, v2, v6, vcc
.LBB0_4:                                ;   in Loop: Header=BB0_2 Depth=1
	s_andn2_saveexec_b64 s[0:1], s[20:21]
	s_cbranch_execz .LBB0_6
; %bb.5:                                ;   in Loop: Header=BB0_2 Depth=1
	v_cvt_f32_u32_e32 v2, s18
	s_sub_i32 s20, 0, s18
	v_rcp_iflag_f32_e32 v2, v2
	v_mul_f32_e32 v2, 0x4f7ffffe, v2
	v_cvt_u32_f32_e32 v2, v2
	v_mul_lo_u32 v6, s20, v2
	v_mul_hi_u32 v6, v2, v6
	v_add_u32_e32 v2, v2, v6
	v_mul_hi_u32 v2, v7, v2
	v_mul_lo_u32 v6, v2, s18
	v_add_u32_e32 v9, 1, v2
	v_sub_u32_e32 v6, v7, v6
	v_subrev_u32_e32 v10, s18, v6
	v_cmp_le_u32_e32 vcc, s18, v6
	v_cndmask_b32_e32 v6, v6, v10, vcc
	v_cndmask_b32_e32 v2, v2, v9, vcc
	v_add_u32_e32 v9, 1, v2
	v_cmp_le_u32_e32 vcc, s18, v6
	v_cndmask_b32_e32 v9, v2, v9, vcc
	v_mov_b32_e32 v10, v5
.LBB0_6:                                ;   in Loop: Header=BB0_2 Depth=1
	s_or_b64 exec, exec, s[0:1]
	v_mul_lo_u32 v2, v10, s18
	v_mul_lo_u32 v6, v9, s19
	v_mad_u64_u32 v[11:12], s[0:1], v9, s18, 0
	s_load_dwordx2 s[0:1], s[6:7], 0x0
	s_add_u32 s14, s14, 1
	v_add3_u32 v2, v12, v6, v2
	v_sub_co_u32_e32 v6, vcc, v7, v11
	v_subb_co_u32_e32 v2, vcc, v8, v2, vcc
	s_waitcnt lgkmcnt(0)
	v_mul_lo_u32 v2, s0, v2
	v_mul_lo_u32 v7, s1, v6
	v_mad_u64_u32 v[3:4], s[0:1], s0, v6, v[3:4]
	s_addc_u32 s15, s15, 0
	s_add_u32 s6, s6, 8
	v_add3_u32 v4, v7, v4, v2
	v_mov_b32_e32 v6, s10
	v_mov_b32_e32 v7, s11
	s_addc_u32 s7, s7, 0
	v_cmp_ge_u64_e32 vcc, s[14:15], v[6:7]
	s_add_u32 s16, s16, 8
	s_addc_u32 s17, s17, 0
	s_cbranch_vccnz .LBB0_8
; %bb.7:                                ;   in Loop: Header=BB0_2 Depth=1
	v_mov_b32_e32 v7, v9
	v_mov_b32_e32 v8, v10
	s_branch .LBB0_2
.LBB0_8:
	s_lshl_b64 s[0:1], s[10:11], 3
	s_add_u32 s0, s2, s0
	s_addc_u32 s1, s3, s1
	s_load_dwordx2 s[2:3], s[0:1], 0x0
	s_load_dwordx2 s[6:7], s[4:5], 0x20
	v_mov_b32_e32 v38, 0
	v_mov_b32_e32 v7, 0
                                        ; implicit-def: $vgpr11
                                        ; implicit-def: $vgpr26
                                        ; implicit-def: $vgpr12
                                        ; implicit-def: $vgpr27
                                        ; implicit-def: $vgpr13
                                        ; implicit-def: $vgpr28
                                        ; implicit-def: $vgpr14
                                        ; implicit-def: $vgpr29
                                        ; implicit-def: $vgpr15
                                        ; implicit-def: $vgpr30
                                        ; implicit-def: $vgpr16
                                        ; implicit-def: $vgpr31
                                        ; implicit-def: $vgpr17
                                        ; implicit-def: $vgpr32
                                        ; implicit-def: $vgpr18
                                        ; implicit-def: $vgpr33
                                        ; implicit-def: $vgpr25
                                        ; implicit-def: $vgpr41
                                        ; implicit-def: $vgpr19
                                        ; implicit-def: $vgpr40
                                        ; implicit-def: $vgpr20
                                        ; implicit-def: $vgpr39
                                        ; implicit-def: $vgpr21
                                        ; implicit-def: $vgpr37
                                        ; implicit-def: $vgpr22
                                        ; implicit-def: $vgpr36
                                        ; implicit-def: $vgpr23
                                        ; implicit-def: $vgpr35
                                        ; implicit-def: $vgpr24
                                        ; implicit-def: $vgpr34
	s_waitcnt lgkmcnt(0)
	v_mad_u64_u32 v[4:5], s[0:1], s2, v9, v[3:4]
	s_mov_b32 s0, 0x7878788
	v_mul_lo_u32 v2, s2, v10
	v_mul_lo_u32 v6, s3, v9
	v_mul_hi_u32 v3, v0, s0
	v_cmp_gt_u64_e32 vcc, s[6:7], v[9:10]
	v_add3_u32 v5, v6, v5, v2
	v_mul_u32_u24_e32 v2, 34, v3
	v_sub_u32_e32 v6, v0, v2
	v_mov_b32_e32 v0, 0
                                        ; implicit-def: $vgpr2
                                        ; implicit-def: $vgpr3
	s_and_saveexec_b64 s[2:3], vcc
	s_cbranch_execz .LBB0_12
; %bb.9:
	v_cmp_gt_u32_e64 s[0:1], 18, v6
	v_mov_b32_e32 v38, 0
	v_mov_b32_e32 v0, 0
                                        ; implicit-def: $vgpr34
                                        ; implicit-def: $vgpr24
                                        ; implicit-def: $vgpr35
                                        ; implicit-def: $vgpr23
                                        ; implicit-def: $vgpr36
                                        ; implicit-def: $vgpr22
                                        ; implicit-def: $vgpr37
                                        ; implicit-def: $vgpr21
                                        ; implicit-def: $vgpr39
                                        ; implicit-def: $vgpr20
                                        ; implicit-def: $vgpr40
                                        ; implicit-def: $vgpr19
                                        ; implicit-def: $vgpr41
                                        ; implicit-def: $vgpr25
                                        ; implicit-def: $vgpr33
                                        ; implicit-def: $vgpr18
                                        ; implicit-def: $vgpr32
                                        ; implicit-def: $vgpr17
                                        ; implicit-def: $vgpr31
                                        ; implicit-def: $vgpr16
                                        ; implicit-def: $vgpr30
                                        ; implicit-def: $vgpr15
                                        ; implicit-def: $vgpr29
                                        ; implicit-def: $vgpr14
                                        ; implicit-def: $vgpr28
                                        ; implicit-def: $vgpr13
                                        ; implicit-def: $vgpr27
                                        ; implicit-def: $vgpr12
                                        ; implicit-def: $vgpr26
                                        ; implicit-def: $vgpr11
                                        ; implicit-def: $vgpr3
                                        ; implicit-def: $vgpr2
	s_and_saveexec_b64 s[4:5], s[0:1]
	s_cbranch_execz .LBB0_11
; %bb.10:
	v_lshlrev_b64 v[2:3], 2, v[4:5]
	v_mov_b32_e32 v7, 0
	v_mov_b32_e32 v0, s13
	v_add_co_u32_e64 v8, s[0:1], s12, v2
	v_addc_co_u32_e64 v0, s[0:1], v0, v3, s[0:1]
	v_lshlrev_b64 v[2:3], 2, v[6:7]
	v_add_co_u32_e64 v7, s[0:1], v8, v2
	v_addc_co_u32_e64 v8, s[0:1], v0, v3, s[0:1]
	global_load_dword v38, v[7:8], off
	global_load_dword v3, v[7:8], off offset:72
	global_load_dword v26, v[7:8], off offset:144
	;; [unrolled: 1-line block ×16, first 2 shown]
	s_waitcnt vmcnt(16)
	v_lshrrev_b32_e32 v0, 16, v38
	s_waitcnt vmcnt(15)
	v_lshrrev_b32_e32 v2, 16, v3
	s_waitcnt vmcnt(14)
	v_lshrrev_b32_e32 v11, 16, v26
	s_waitcnt vmcnt(13)
	v_lshrrev_b32_e32 v12, 16, v27
	s_waitcnt vmcnt(12)
	v_lshrrev_b32_e32 v13, 16, v28
	s_waitcnt vmcnt(11)
	v_lshrrev_b32_e32 v14, 16, v29
	s_waitcnt vmcnt(10)
	v_lshrrev_b32_e32 v15, 16, v30
	s_waitcnt vmcnt(9)
	v_lshrrev_b32_e32 v16, 16, v31
	s_waitcnt vmcnt(8)
	v_lshrrev_b32_e32 v17, 16, v32
	s_waitcnt vmcnt(7)
	v_lshrrev_b32_e32 v18, 16, v33
	s_waitcnt vmcnt(6)
	v_lshrrev_b32_e32 v24, 16, v34
	s_waitcnt vmcnt(5)
	v_lshrrev_b32_e32 v23, 16, v35
	s_waitcnt vmcnt(4)
	v_lshrrev_b32_e32 v22, 16, v36
	s_waitcnt vmcnt(3)
	v_lshrrev_b32_e32 v21, 16, v37
	s_waitcnt vmcnt(2)
	v_lshrrev_b32_e32 v20, 16, v39
	s_waitcnt vmcnt(1)
	v_lshrrev_b32_e32 v19, 16, v40
	s_waitcnt vmcnt(0)
	v_lshrrev_b32_e32 v25, 16, v41
.LBB0_11:
	s_or_b64 exec, exec, s[4:5]
	v_mov_b32_e32 v7, v6
.LBB0_12:
	s_or_b64 exec, exec, s[2:3]
	s_mov_b32 s0, 0x24924925
	v_mul_hi_u32 v8, v1, s0
	v_sub_f16_e32 v43, v2, v25
	s_mov_b32 s0, 0xbbdd
	v_add_f16_e32 v42, v3, v41
	v_sub_u32_e32 v9, v1, v8
	v_lshrrev_b32_e32 v9, 1, v9
	v_add_u32_e32 v8, v9, v8
	v_lshrrev_b32_e32 v8, 2, v8
	v_mul_lo_u32 v8, v8, 7
	v_mul_f16_e32 v9, 0xb1e1, v43
	v_sub_f16_e32 v44, v11, v19
	v_fma_f16 v10, v42, s0, v9
	v_sub_u32_e32 v57, v1, v8
	s_movk_i32 s1, 0x3b76
	v_add_f16_e32 v1, v26, v40
	v_mul_f16_e32 v8, 0x35c8, v44
	v_fma_f16 v9, v42, s0, -v9
	v_add_f16_e32 v10, v38, v10
	v_fma_f16 v45, v1, s1, v8
	v_add_f16_e32 v9, v38, v9
	v_fma_f16 v8, v1, s1, -v8
	v_sub_f16_e32 v46, v12, v20
	v_add_f16_e32 v10, v10, v45
	v_add_f16_e32 v8, v9, v8
	s_mov_b32 s0, 0xbacd
	v_add_f16_e32 v45, v27, v39
	v_mul_f16_e32 v9, 0xb836, v46
	v_fma_f16 v47, v45, s0, v9
	v_fma_f16 v9, v45, s0, -v9
	v_sub_f16_e32 v48, v13, v21
	v_add_f16_e32 v10, v10, v47
	v_add_f16_e32 v8, v8, v9
	s_movk_i32 s0, 0x39e9
	v_add_f16_e32 v47, v28, v37
	v_mul_f16_e32 v9, 0x3964, v48
	v_fma_f16 v49, v47, s0, v9
	v_fma_f16 v9, v47, s0, -v9
	v_sub_f16_e32 v50, v14, v22
	v_add_f16_e32 v10, v10, v49
	v_add_f16_e32 v8, v8, v9
	s_mov_b32 s0, 0xb8d2
	v_add_f16_e32 v49, v29, v36
	v_mul_f16_e32 v9, 0xba62, v50
	v_fma_f16 v51, v49, s0, v9
	v_fma_f16 v9, v49, s0, -v9
	v_sub_f16_e32 v52, v15, v23
	v_add_f16_e32 v10, v10, v51
	v_add_f16_e32 v8, v8, v9
	s_movk_i32 s0, 0x3722
	v_add_f16_e32 v51, v30, v35
	v_mul_f16_e32 v9, 0x3b29, v52
	v_fma_f16 v53, v51, s0, v9
	;; [unrolled: 16-line block ×3, first 2 shown]
	v_fma_f16 v9, v55, s0, -v9
	v_add_f16_e32 v8, v9, v8
	v_mul_u32_u24_e32 v9, 0x132, v57
	v_add_f16_e32 v10, v58, v10
	s_mov_b32 s11, 0xb1e1
	s_movk_i32 s6, 0x35c8
	s_mov_b32 s15, 0xb836
	s_movk_i32 s7, 0x3964
	s_movk_i32 s4, 0x3b29
	s_mov_b32 s14, 0xbbb2
	s_movk_i32 s5, 0x3bf7
	v_cmp_gt_u32_e64 s[0:1], 18, v6
	v_lshlrev_b32_e32 v9, 1, v9
	s_and_saveexec_b64 s[2:3], s[0:1]
	s_cbranch_execz .LBB0_14
; %bb.13:
	v_mul_f16_e32 v61, 0xbacd, v42
	v_mul_f16_e32 v62, 0x3722, v1
	v_fma_f16 v57, v43, s15, v61
	v_mul_f16_e32 v63, 0x2de8, v45
	s_mov_b32 s16, 0xbbf7
	v_add_f16_e32 v57, v38, v57
	v_fma_f16 v58, v44, s4, v62
	v_mul_f16_e32 v64, 0xb8d2, v47
	s_movk_i32 s10, 0x3a62
	v_add_f16_e32 v57, v57, v58
	v_fma_f16 v58, v46, s16, v63
	v_mul_f16_e32 v65, 0x3b76, v49
	s_mov_b32 s17, 0xb5c8
	v_add_f16_e32 v57, v57, v58
	v_fma_f16 v58, v48, s10, v64
	v_add_f16_e32 v57, v57, v58
	v_fma_f16 v58, v50, s17, v65
	s_mov_b32 s17, 0x39e93b76
	v_pk_mul_f16 v71, v42, s17 op_sel_hi:[0,1]
	s_mov_b32 s17, 0xb964b5c8
	s_mov_b32 s18, 0x2de839e9
	v_pk_mul_f16 v72, v1, s18 op_sel_hi:[0,1]
	s_mov_b32 s18, 0xbbf7b964
	s_mov_b32 s19, 0xb8d23722
	v_pk_fma_f16 v59, v43, s17, v71 op_sel_hi:[0,1,1]
	v_pk_mul_f16 v73, v45, s19 op_sel_hi:[0,1]
	s_mov_b32 s19, 0xba62bb29
	s_mov_b32 s20, 0xbbdd2de8
	v_pk_add_f16 v59, v38, v59 op_sel_hi:[0,1]
	v_pk_fma_f16 v60, v44, s18, v72 op_sel_hi:[0,1,1]
	v_pk_mul_f16 v74, v47, s20 op_sel_hi:[0,1]
	s_mov_b32 s20, 0xb1e1bbf7
	s_mov_b32 s21, 0xbacdb461
	v_pk_add_f16 v59, v59, v60
	v_pk_fma_f16 v60, v46, s19, v73 op_sel_hi:[0,1,1]
	v_mul_f16_e32 v66, 0xbbdd, v51
	v_pk_mul_f16 v75, v49, s21 op_sel_hi:[0,1]
	s_mov_b32 s21, 0x3836bbb2
	s_mov_b32 s22, 0xb461b8d2
	v_pk_add_f16 v59, v59, v60
	v_pk_fma_f16 v60, v48, s20, v74 op_sel_hi:[0,1,1]
	v_mul_f16_e32 v67, 0x39e9, v53
	v_add_f16_e32 v57, v57, v58
	v_fma_f16 v58, v52, s11, v66
	v_pk_mul_f16 v76, v51, s22 op_sel_hi:[0,1]
	s_mov_b32 s22, 0x3bb2ba62
	s_mov_b32 s23, 0x3722bacd
	v_pk_add_f16 v59, v59, v60
	v_pk_fma_f16 v60, v50, s21, v75 op_sel_hi:[0,1,1]
	v_mul_f16_e32 v68, 0xb461, v55
	v_add_f16_e32 v57, v57, v58
	v_fma_f16 v58, v54, s7, v67
	v_pk_mul_f16 v77, v53, s23 op_sel_hi:[0,1]
	s_mov_b32 s23, 0x3b29b836
	s_mov_b32 s24, 0x3b76bbdd
	v_pk_add_f16 v59, v59, v60
	v_pk_fma_f16 v60, v52, s22, v76 op_sel_hi:[0,1,1]
	v_add_f16_e32 v57, v57, v58
	v_fma_f16 v58, v56, s14, v68
	s_mov_b32 s15, 0x2de83722
	v_pk_mul_f16 v78, v55, s24 op_sel_hi:[0,1]
	s_mov_b32 s24, 0x35c8b1e1
	v_pk_add_f16 v59, v59, v60
	v_pk_fma_f16 v60, v54, s23, v77 op_sel_hi:[0,1,1]
	v_add_f16_e32 v57, v58, v57
	v_pk_mul_f16 v58, v42, s15 op_sel_hi:[0,1]
	s_mov_b32 s15, 0xbbf7bb29
	s_mov_b32 s16, 0xbbddb8d2
	v_pk_add_f16 v59, v59, v60
	v_pk_fma_f16 v60, v56, s24, v78 op_sel_hi:[0,1,1]
	v_pk_add_f16 v79, v60, v59
	v_pk_mul_f16 v59, v1, s16 op_sel_hi:[0,1]
	s_mov_b32 s16, 0xb1e1ba62
	v_pk_fma_f16 v58, v43, s15, v58 op_sel_hi:[0,1,1]
	s_mov_b32 s17, 0xb461bbdd
	v_pk_add_f16 v58, v38, v58 op_sel_hi:[0,1]
	v_pk_fma_f16 v59, v44, s16, v59 op_sel_hi:[0,1,1]
	v_pk_add_f16 v58, v58, v59
	v_pk_mul_f16 v59, v45, s17 op_sel_hi:[0,1]
	s_mov_b32 s15, 0x3bb231e1
	s_mov_b32 s16, 0x3b76b461
	v_pk_fma_f16 v59, v46, s15, v59 op_sel_hi:[0,1,1]
	v_pk_add_f16 v58, v58, v59
	v_pk_mul_f16 v59, v47, s16 op_sel_hi:[0,1]
	s_mov_b32 s15, 0x35c83bb2
	s_mov_b32 s16, 0x372239e9
	;; [unrolled: 5-line block ×5, first 2 shown]
	v_pk_fma_f16 v59, v54, s15, v59 op_sel_hi:[0,1,1]
	s_mov_b32 s11, 0xb8d2b461
	v_pk_add_f16 v58, v58, v59
	v_pk_mul_f16 v59, v55, s16 op_sel_hi:[0,1]
	s_mov_b32 s15, 0x3964b836
	v_pk_mul_f16 v69, v42, s11 op_sel_hi:[0,1]
	s_mov_b32 s14, 0xba62bbb2
	s_mov_b32 s11, 0xb461bacd
	v_pk_fma_f16 v59, v56, s15, v59 op_sel_hi:[0,1,1]
	v_pk_mul_f16 v70, v1, s11 op_sel_hi:[0,1]
	s_mov_b32 s11, 0x3bb23836
	v_pk_add_f16 v58, v59, v58
	v_pk_fma_f16 v59, v43, s14, v69 op_sel_hi:[0,1,1]
	s_mov_b32 s15, 0x3b7639e9
	v_pk_add_f16 v59, v38, v59 op_sel_hi:[0,1]
	v_pk_fma_f16 v60, v44, s11, v70 op_sel_hi:[0,1,1]
	s_mov_b32 s16, 0xb5c83964
	v_pk_mul_f16 v80, v45, s15 op_sel_hi:[0,1]
	s_mov_b32 s15, 0xbacd3722
	v_pk_add_f16 v59, v59, v60
	v_pk_fma_f16 v60, v46, s16, v80 op_sel_hi:[0,1,1]
	s_mov_b32 s17, 0xb836bb29
	v_pk_mul_f16 v81, v47, s15 op_sel_hi:[0,1]
	s_mov_b32 s15, 0x2de8bbdd
	v_pk_add_f16 v59, v59, v60
	;; [unrolled: 5-line block ×5, first 2 shown]
	v_pk_fma_f16 v60, v54, s20, v84 op_sel_hi:[0,1,1]
	s_mov_b32 s21, 0x3b29ba62
	v_pk_mul_f16 v85, v55, s15 op_sel_hi:[0,1]
	v_pk_add_f16 v59, v59, v60
	v_pk_fma_f16 v60, v56, s21, v85 op_sel_hi:[0,1,1]
	v_pk_add_f16 v59, v60, v59
	v_alignbit_b32 v60, v57, v59, 16
	v_add_f16_e32 v57, v38, v3
	v_add_f16_e32 v57, v57, v26
	;; [unrolled: 1-line block ×16, first 2 shown]
	v_alignbit_b32 v59, v59, v58, 16
	v_alignbit_b32 v58, v58, v79, 16
	v_pack_b32_f16 v57, v57, v79
	v_mul_u32_u24_e32 v79, 34, v6
	v_add3_u32 v79, 0, v79, v9
	ds_write_b128 v79, v[57:60]
	v_fma_f16 v57, v43, s6, v71
	v_add_f16_e32 v57, v38, v57
	v_fma_f16 v58, v44, s7, v72
	v_add_f16_e32 v57, v57, v58
	;; [unrolled: 2-line block ×3, first 2 shown]
	v_fma_f16 v58, v48, s5, v74
	s_movk_i32 s4, 0x3bb2
	v_add_f16_e32 v57, v57, v58
	v_fma_f16 v58, v50, s4, v75
	s_movk_i32 s4, 0x3836
	v_fma_f16 v60, v54, s4, v77
	s_movk_i32 s4, 0x31e1
	v_fma_f16 v71, v56, s4, v78
	s_mov_b32 s4, 0xffff
	v_add_f16_e32 v57, v57, v58
	v_mul_f16_e32 v58, 0xb836, v43
	v_fma_f16 v59, v52, s10, v76
	v_bfi_b32 v61, s4, v61, v69
	v_pk_mul_f16 v69, v43, s14 op_sel_hi:[0,1]
	v_add_f16_e32 v57, v57, v59
	v_mul_f16_e32 v59, 0x3b29, v44
	v_bfi_b32 v58, s4, v58, v69
	v_bfi_b32 v62, s4, v62, v70
	v_pk_mul_f16 v70, v44, s11 op_sel_hi:[0,1]
	v_pk_add_f16 v58, v61, v58 neg_lo:[0,1] neg_hi:[0,1]
	v_bfi_b32 v59, s4, v59, v70
	v_pk_add_f16 v59, v62, v59 neg_lo:[0,1] neg_hi:[0,1]
	v_pk_add_f16 v58, v38, v58 op_sel_hi:[0,1]
	v_add_f16_e32 v57, v57, v60
	v_mul_f16_e32 v60, 0xbbf7, v46
	v_pk_add_f16 v58, v58, v59
	v_pk_mul_f16 v59, v46, s16 op_sel_hi:[0,1]
	v_add_f16_e32 v71, v71, v57
	v_mul_f16_e32 v57, 0x3a62, v48
	v_bfi_b32 v63, s4, v63, v80
	v_pk_mul_f16 v72, v48, s17 op_sel_hi:[0,1]
	v_bfi_b32 v59, s4, v60, v59
	v_pk_add_f16 v59, v63, v59 neg_lo:[0,1] neg_hi:[0,1]
	v_bfi_b32 v64, s4, v64, v81
	v_bfi_b32 v57, s4, v57, v72
	v_mul_f16_e32 v69, 0xb5c8, v50
	v_pk_mul_f16 v60, v50, s18 op_sel_hi:[0,1]
	v_pk_add_f16 v58, v58, v59
	v_pk_add_f16 v57, v64, v57 neg_lo:[0,1] neg_hi:[0,1]
	v_pk_add_f16 v57, v58, v57
	v_bfi_b32 v58, s4, v65, v82
	v_bfi_b32 v60, s4, v69, v60
	v_mul_f16_e32 v61, 0xb1e1, v52
	v_pk_mul_f16 v63, v52, s19 op_sel_hi:[0,1]
	v_pk_add_f16 v58, v58, v60 neg_lo:[0,1] neg_hi:[0,1]
	v_pk_add_f16 v57, v57, v58
	v_bfi_b32 v58, s4, v66, v83
	v_bfi_b32 v60, s4, v61, v63
	v_mul_f16_e32 v70, 0x3964, v54
	v_pk_mul_f16 v59, v54, s20 op_sel_hi:[0,1]
	;; [unrolled: 6-line block ×3, first 2 shown]
	v_pk_add_f16 v58, v58, v59 neg_lo:[0,1] neg_hi:[0,1]
	v_pk_add_f16 v57, v57, v58
	v_bfi_b32 v58, s4, v68, v85
	v_bfi_b32 v59, s4, v62, v73
	v_pk_add_f16 v58, v58, v59 neg_lo:[0,1] neg_hi:[0,1]
	s_mov_b32 s5, 0x3bf73bb2
	v_pk_add_f16 v57, v58, v57
	s_mov_b32 s4, 0x2de8b461
	v_pk_mul_f16 v58, v43, s5 op_sel_hi:[0,1]
	s_mov_b32 s5, 0x31e1b836
	v_pk_fma_f16 v58, v42, s4, v58 op_sel_hi:[0,1,1]
	s_mov_b32 s4, 0xbbddbacd
	v_pk_mul_f16 v59, v44, s5 op_sel_hi:[0,1]
	v_pk_add_f16 v58, v38, v58 op_sel_hi:[0,1]
	v_pk_fma_f16 v59, v1, s4, v59 op_sel_hi:[0,1,1]
	s_mov_b32 s5, 0xbbb2b964
	v_pk_add_f16 v58, v58, v59
	s_mov_b32 s4, 0xb46139e9
	v_pk_mul_f16 v59, v46, s5 op_sel_hi:[0,1]
	v_pk_fma_f16 v59, v45, s4, v59 op_sel_hi:[0,1,1]
	s_mov_b32 s5, 0xb5c83b29
	v_pk_add_f16 v58, v58, v59
	s_mov_b32 s4, 0x3b763722
	v_pk_mul_f16 v59, v48, s5 op_sel_hi:[0,1]
	;; [unrolled: 5-line block ×6, first 2 shown]
	s_mov_b32 s5, 0x39643b29
	v_pk_fma_f16 v59, v55, s4, v59 op_sel_hi:[0,1,1]
	s_mov_b32 s4, 0x39e93722
	v_pk_mul_f16 v43, v43, s5 op_sel_hi:[0,1]
	v_pk_fma_f16 v42, v42, s4, v43 op_sel_hi:[0,1,1]
	s_mov_b32 s5, 0x3bf73a62
	v_pk_add_f16 v38, v38, v42 op_sel_hi:[0,1]
	s_mov_b32 s4, 0x2de8b8d2
	v_pk_mul_f16 v42, v44, s5 op_sel_hi:[0,1]
	v_pk_fma_f16 v1, v1, s4, v42 op_sel_hi:[0,1,1]
	s_mov_b32 s5, 0x3a62b1e1
	v_pk_add_f16 v1, v38, v1
	s_mov_b32 s4, 0xb8d2bbdd
	v_pk_mul_f16 v38, v46, s5 op_sel_hi:[0,1]
	v_pk_fma_f16 v38, v45, s4, v38 op_sel_hi:[0,1,1]
	s_mov_b32 s5, 0x31e1bbb2
	v_pk_add_f16 v1, v1, v38
	;; [unrolled: 5-line block ×7, first 2 shown]
	v_pk_add_f16 v59, v38, v1
	v_perm_b32 v56, v8, v10, s4
	ds_write_b128 v79, v[56:59] offset:16
	ds_write_b16 v79, v71 offset:32
.LBB0_14:
	s_or_b64 exec, exec, s[2:3]
	v_lshlrev_b32_e32 v1, 1, v6
	v_add3_u32 v38, 0, v9, v1
	v_add_u32_e32 v51, 0, v1
	s_waitcnt lgkmcnt(0)
	s_barrier
	v_add_u32_e32 v42, v51, v9
	ds_read_u16 v49, v38
	ds_read_u16 v47, v42 offset:68
	ds_read_u16 v48, v42 offset:136
	ds_read_u16 v45, v42 offset:374
	ds_read_u16 v43, v42 offset:442
	ds_read_u16 v44, v42 offset:510
	ds_read_u16 v46, v42 offset:306
	ds_read_u16 v50, v42 offset:204
	v_cmp_gt_u32_e64 s[2:3], 17, v6
	s_and_saveexec_b64 s[4:5], s[2:3]
	s_cbranch_execz .LBB0_16
; %bb.15:
	ds_read_u16 v10, v42 offset:272
	ds_read_u16 v8, v42 offset:578
.LBB0_16:
	s_or_b64 exec, exec, s[4:5]
	v_sub_f16_e32 v53, v3, v41
	s_mov_b32 s5, 0xb1e1b836
	v_add_f16_e32 v52, v2, v25
	v_sub_f16_e32 v40, v26, v40
	s_mov_b32 s4, 0xbbddbacd
	v_pk_mul_f16 v26, v53, s5 op_sel_hi:[0,1]
	s_mov_b32 s6, 0x35c83b29
	v_add_f16_e32 v1, v11, v19
	v_sub_f16_e32 v32, v32, v33
	v_pk_fma_f16 v3, v52, s4, v26 op_sel_hi:[0,1,1] neg_lo:[0,0,1] neg_hi:[0,0,1]
	s_mov_b32 s5, 0x3b763722
	v_pk_mul_f16 v33, v40, s6 op_sel_hi:[0,1]
	v_sub_f16_e32 v27, v27, v39
	v_pk_add_f16 v3, v0, v3 op_sel_hi:[0,1]
	v_pk_fma_f16 v54, v1, s5, v33 op_sel_hi:[0,1,1] neg_lo:[0,0,1] neg_hi:[0,0,1]
	s_mov_b32 s7, 0xb836bbf7
	v_add_f16_e32 v41, v12, v20
	v_pk_add_f16 v3, v3, v54
	s_mov_b32 s6, 0xbacd2de8
	v_pk_mul_f16 v54, v27, s7 op_sel_hi:[0,1]
	v_sub_f16_e32 v28, v28, v37
	v_pk_fma_f16 v55, v41, s6, v54 op_sel_hi:[0,1,1] neg_lo:[0,0,1] neg_hi:[0,0,1]
	s_mov_b32 s10, 0x39643a62
	v_add_f16_e32 v39, v13, v21
	v_pk_add_f16 v3, v3, v55
	s_mov_b32 s7, 0x39e9b8d2
	v_pk_mul_f16 v55, v28, s10 op_sel_hi:[0,1]
	v_sub_f16_e32 v29, v29, v36
	v_pk_fma_f16 v56, v39, s7, v55 op_sel_hi:[0,1,1] neg_lo:[0,0,1] neg_hi:[0,0,1]
	s_mov_b32 s11, 0xba62b5c8
	v_add_f16_e32 v37, v14, v22
	v_pk_add_f16 v3, v3, v56
	s_mov_b32 s10, 0xb8d23b76
	v_pk_mul_f16 v56, v29, s11 op_sel_hi:[0,1]
	v_pk_fma_f16 v26, v52, s4, v26 op_sel_hi:[0,1,1]
	v_sub_f16_e32 v30, v30, v35
	v_pk_fma_f16 v57, v37, s10, v56 op_sel_hi:[0,1,1] neg_lo:[0,0,1] neg_hi:[0,0,1]
	s_mov_b32 s14, 0x3b29b1e1
	v_pk_add_f16 v26, v0, v26 op_sel_hi:[0,1]
	v_pk_fma_f16 v33, v1, s5, v33 op_sel_hi:[0,1,1]
	v_add_f16_e32 v36, v15, v23
	v_pk_add_f16 v3, v3, v57
	s_mov_b32 s11, 0x3722bbdd
	v_pk_mul_f16 v57, v30, s14 op_sel_hi:[0,1]
	v_pk_add_f16 v26, v26, v33
	v_pk_fma_f16 v33, v41, s6, v54 op_sel_hi:[0,1,1]
	v_sub_f16_e32 v31, v31, v34
	v_pk_fma_f16 v58, v36, s11, v57 op_sel_hi:[0,1,1] neg_lo:[0,0,1] neg_hi:[0,0,1]
	s_mov_b32 s15, 0xbbb23964
	v_pk_add_f16 v26, v26, v33
	v_pk_fma_f16 v33, v39, s7, v55 op_sel_hi:[0,1,1]
	v_add_f16_e32 v35, v16, v24
	v_pk_add_f16 v3, v3, v58
	s_mov_b32 s14, 0xb46139e9
	v_pk_mul_f16 v58, v31, s15 op_sel_hi:[0,1]
	v_pk_add_f16 v26, v26, v33
	v_pk_fma_f16 v33, v37, s10, v56 op_sel_hi:[0,1,1]
	v_pk_fma_f16 v59, v35, s14, v58 op_sel_hi:[0,1,1] neg_lo:[0,0,1] neg_hi:[0,0,1]
	s_mov_b32 s16, 0x3bf7bbb2
	v_pk_add_f16 v26, v26, v33
	v_pk_fma_f16 v33, v36, s11, v57 op_sel_hi:[0,1,1]
	v_add_f16_e32 v34, v17, v18
	v_pk_add_f16 v3, v3, v59
	s_mov_b32 s15, 0x2de8b461
	v_pk_mul_f16 v59, v32, s16 op_sel_hi:[0,1]
	v_pk_add_f16 v26, v26, v33
	v_pk_fma_f16 v33, v35, s14, v58 op_sel_hi:[0,1,1]
	v_pk_fma_f16 v60, v34, s15, v59 op_sel_hi:[0,1,1] neg_lo:[0,0,1] neg_hi:[0,0,1]
	v_pk_add_f16 v26, v26, v33
	v_pk_fma_f16 v33, v34, s15, v59 op_sel_hi:[0,1,1]
	v_pk_add_f16 v3, v60, v3
	v_pk_add_f16 v26, v33, v26
	s_waitcnt lgkmcnt(0)
	s_barrier
	s_and_saveexec_b64 s[4:5], s[0:1]
	s_cbranch_execz .LBB0_18
; %bb.17:
	s_mov_b32 s0, 0x5040100
	v_pack_b32_f16 v33, v52, v52
	v_pack_b32_f16 v52, v53, v53
	v_perm_b32 v53, v0, v0, s0
	v_add_f16_e32 v0, v0, v2
	v_add_f16_e32 v0, v0, v11
	;; [unrolled: 1-line block ×14, first 2 shown]
	s_mov_b32 s1, 0xb964b5c8
	v_pack_b32_f16 v54, v1, v1
	v_pack_b32_f16 v40, v40, v40
	v_add_f16_e32 v0, v19, v0
	s_mov_b32 s0, 0x39e93b76
	v_pk_mul_f16 v1, v52, s1
	s_mov_b32 s6, 0xbbf7b964
	v_add_f16_e32 v11, v25, v0
	v_pk_fma_f16 v0, v33, s0, v1 neg_lo:[0,0,1] neg_hi:[0,0,1]
	s_mov_b32 s1, 0x2de839e9
	v_pk_mul_f16 v2, v40, s6
	v_pack_b32_f16 v27, v27, v27
	v_pk_add_f16 v0, v53, v0
	v_pk_fma_f16 v12, v54, s1, v2 neg_lo:[0,0,1] neg_hi:[0,0,1]
	s_mov_b32 s7, 0xba62bb29
	v_pack_b32_f16 v41, v41, v41
	v_pk_add_f16 v0, v0, v12
	s_mov_b32 s6, 0xb8d23722
	v_pk_mul_f16 v12, v27, s7
	v_pack_b32_f16 v28, v28, v28
	v_pk_fma_f16 v13, v41, s6, v12 neg_lo:[0,0,1] neg_hi:[0,0,1]
	s_mov_b32 s10, 0xb1e1bbf7
	v_pack_b32_f16 v39, v39, v39
	v_pk_add_f16 v0, v0, v13
	s_mov_b32 s7, 0xbbdd2de8
	v_pk_mul_f16 v13, v28, s10
	v_pack_b32_f16 v29, v29, v29
	v_pk_fma_f16 v14, v39, s7, v13 neg_lo:[0,0,1] neg_hi:[0,0,1]
	s_mov_b32 s11, 0x3836bbb2
	v_pack_b32_f16 v37, v37, v37
	v_pk_add_f16 v0, v0, v14
	s_mov_b32 s10, 0xbacdb461
	v_pk_mul_f16 v14, v29, s11
	v_pk_fma_f16 v1, v33, s0, v1
	v_pack_b32_f16 v30, v30, v30
	v_pk_fma_f16 v15, v37, s10, v14 neg_lo:[0,0,1] neg_hi:[0,0,1]
	s_mov_b32 s14, 0x3bb2ba62
	v_pk_add_f16 v1, v53, v1
	v_pk_fma_f16 v2, v54, s1, v2
	v_pack_b32_f16 v36, v36, v36
	v_pk_add_f16 v0, v0, v15
	s_mov_b32 s11, 0xb461b8d2
	v_pk_mul_f16 v15, v30, s14
	v_pk_add_f16 v1, v1, v2
	v_pk_fma_f16 v2, v41, s6, v12
	v_pack_b32_f16 v31, v31, v31
	v_pk_fma_f16 v16, v36, s11, v15 neg_lo:[0,0,1] neg_hi:[0,0,1]
	s_mov_b32 s15, 0x3b29b836
	v_pk_add_f16 v1, v1, v2
	v_pk_fma_f16 v2, v39, s7, v13
	v_pack_b32_f16 v35, v35, v35
	v_pk_add_f16 v0, v0, v16
	s_mov_b32 s14, 0x3722bacd
	v_pk_mul_f16 v16, v31, s15
	v_pk_add_f16 v1, v1, v2
	;; [unrolled: 11-line block ×3, first 2 shown]
	v_pk_fma_f16 v2, v35, s14, v16
	v_pk_add_f16 v1, v1, v2
	v_pk_fma_f16 v2, v34, s15, v17
	s_mov_b32 s1, 0xbbf7bb29
	v_pk_add_f16 v14, v2, v1
	s_mov_b32 s0, 0x2de83722
	v_pk_mul_f16 v2, v52, s1
	s_mov_b32 s6, 0xb1e1ba62
	v_pk_fma_f16 v1, v33, s0, v2 neg_lo:[0,0,1] neg_hi:[0,0,1]
	s_mov_b32 s1, 0xbbddb8d2
	v_pk_mul_f16 v12, v40, s6
	v_pk_add_f16 v1, v53, v1
	v_pk_fma_f16 v13, v54, s1, v12 neg_lo:[0,0,1] neg_hi:[0,0,1]
	s_mov_b32 s7, 0x3bb231e1
	v_pk_add_f16 v1, v1, v13
	s_mov_b32 s6, 0xb461bbdd
	v_pk_mul_f16 v13, v27, s7
	v_pk_fma_f16 v15, v41, s6, v13 neg_lo:[0,0,1] neg_hi:[0,0,1]
	s_mov_b32 s10, 0x35c83bb2
	v_pk_add_f16 v1, v1, v15
	s_mov_b32 s7, 0x3b76b461
	v_pk_mul_f16 v15, v28, s10
	;; [unrolled: 5-line block ×3, first 2 shown]
	v_pk_fma_f16 v2, v33, s0, v2
	v_pk_fma_f16 v18, v34, s15, v17 neg_lo:[0,0,1] neg_hi:[0,0,1]
	v_pk_fma_f16 v17, v37, s10, v16 neg_lo:[0,0,1] neg_hi:[0,0,1]
	s_mov_b32 s14, 0xb836b5c8
	v_pk_add_f16 v2, v53, v2
	v_pk_fma_f16 v12, v54, s1, v12
	v_pk_add_f16 v1, v1, v17
	s_mov_b32 s11, 0xbacd3b76
	v_pk_mul_f16 v17, v30, s14
	v_pk_add_f16 v2, v2, v12
	v_pk_fma_f16 v12, v41, s6, v13
	v_pk_add_f16 v0, v18, v0
	v_pk_fma_f16 v18, v36, s11, v17 neg_lo:[0,0,1] neg_hi:[0,0,1]
	s_mov_b32 s15, 0x3a62bbf7
	v_pk_add_f16 v2, v2, v12
	v_pk_fma_f16 v12, v39, s7, v15
	v_pk_add_f16 v1, v1, v18
	s_mov_b32 s14, 0xb8d22de8
	v_pk_mul_f16 v18, v31, s15
	v_pk_add_f16 v2, v2, v12
	v_pk_fma_f16 v12, v37, s10, v16
	v_pk_fma_f16 v19, v35, s14, v18 neg_lo:[0,0,1] neg_hi:[0,0,1]
	s_mov_b32 s16, 0x3964b836
	v_pk_add_f16 v2, v2, v12
	v_pk_fma_f16 v12, v36, s11, v17
	v_pk_add_f16 v1, v1, v19
	s_mov_b32 s15, 0x39e9bacd
	v_pk_mul_f16 v19, v32, s16
	v_pk_add_f16 v2, v2, v12
	v_pk_fma_f16 v12, v35, s14, v18
	v_pk_add_f16 v2, v2, v12
	v_pk_fma_f16 v12, v34, s15, v19
	s_mov_b32 s1, 0xba62bbb2
	v_pk_add_f16 v13, v12, v2
	s_mov_b32 s0, 0xb8d2b461
	v_pk_mul_f16 v12, v52, s1
	s_mov_b32 s6, 0x3bb23836
	v_pk_fma_f16 v2, v33, s0, v12 neg_lo:[0,0,1] neg_hi:[0,0,1]
	s_mov_b32 s1, 0xb461bacd
	v_pk_mul_f16 v15, v40, s6
	v_pk_add_f16 v2, v53, v2
	v_pk_fma_f16 v16, v54, s1, v15 neg_lo:[0,0,1] neg_hi:[0,0,1]
	s_mov_b32 s7, 0xb5c83964
	v_pk_add_f16 v2, v2, v16
	s_mov_b32 s6, 0x3b7639e9
	v_pk_mul_f16 v16, v27, s7
	v_pk_fma_f16 v17, v41, s6, v16 neg_lo:[0,0,1] neg_hi:[0,0,1]
	s_mov_b32 s10, 0xb836bb29
	v_pk_add_f16 v2, v2, v17
	s_mov_b32 s7, 0xbacd3722
	v_pk_mul_f16 v17, v28, s10
	;; [unrolled: 5-line block ×3, first 2 shown]
	v_pk_fma_f16 v12, v33, s0, v12
	v_pk_fma_f16 v20, v34, s15, v19 neg_lo:[0,0,1] neg_hi:[0,0,1]
	v_pk_fma_f16 v19, v37, s10, v18 neg_lo:[0,0,1] neg_hi:[0,0,1]
	s_mov_b32 s14, 0xb9643bf7
	v_pk_add_f16 v12, v53, v12
	v_pk_fma_f16 v15, v54, s1, v15
	v_pk_add_f16 v2, v2, v19
	s_mov_b32 s11, 0x39e92de8
	v_pk_mul_f16 v19, v30, s14
	v_pk_add_f16 v12, v12, v15
	v_pk_fma_f16 v15, v41, s6, v16
	v_pk_add_f16 v1, v20, v1
	v_pk_fma_f16 v20, v36, s11, v19 neg_lo:[0,0,1] neg_hi:[0,0,1]
	s_mov_b32 s15, 0xb1e1b5c8
	v_pk_add_f16 v12, v12, v15
	v_pk_fma_f16 v15, v39, s7, v17
	v_pk_add_f16 v2, v2, v20
	s_mov_b32 s14, 0xbbdd3b76
	v_pk_mul_f16 v20, v31, s15
	v_pk_add_f16 v12, v12, v15
	v_pk_fma_f16 v15, v37, s10, v18
	v_pk_fma_f16 v21, v35, s14, v20 neg_lo:[0,0,1] neg_hi:[0,0,1]
	s_mov_b32 s16, 0x3b29ba62
	v_pk_add_f16 v12, v12, v15
	v_pk_fma_f16 v15, v36, s11, v19
	v_pk_add_f16 v2, v2, v21
	s_mov_b32 s15, 0x3722b8d2
	v_pk_mul_f16 v21, v32, s16
	v_pk_add_f16 v12, v12, v15
	v_pk_fma_f16 v15, v35, s14, v20
	v_pk_add_f16 v12, v12, v15
	v_pk_fma_f16 v15, v34, s15, v21
	v_pk_add_f16 v12, v15, v12
	v_lshlrev_b32_e32 v15, 5, v6
	v_pk_fma_f16 v22, v34, s15, v21 neg_lo:[0,0,1] neg_hi:[0,0,1]
	v_add3_u32 v15, v51, v15, v9
	v_pk_add_f16 v2, v22, v2
	ds_write_b16 v15, v11
	ds_write_b128 v15, v[0:3] offset:2
	v_alignbit_b32 v11, v26, v26, 16
	v_alignbit_b32 v12, v12, v12, 16
	;; [unrolled: 1-line block ×4, first 2 shown]
	ds_write_b128 v15, v[11:14] offset:18
.LBB0_18:
	s_or_b64 exec, exec, s[4:5]
	s_waitcnt lgkmcnt(0)
	s_barrier
	ds_read_u16 v0, v38
	ds_read_u16 v11, v42 offset:68
	ds_read_u16 v12, v42 offset:136
	;; [unrolled: 1-line block ×7, first 2 shown]
	v_lshrrev_b32_e32 v1, 16, v3
	v_lshrrev_b32_e32 v2, 16, v26
	s_and_saveexec_b64 s[0:1], s[2:3]
	s_cbranch_execz .LBB0_20
; %bb.19:
	ds_read_u16 v1, v42 offset:272
	ds_read_u16 v2, v42 offset:578
.LBB0_20:
	s_or_b64 exec, exec, s[0:1]
	v_subrev_u32_e32 v3, 17, v6
	v_cndmask_b32_e64 v23, v3, v6, s[2:3]
	v_mov_b32_e32 v24, 0
	v_lshlrev_b64 v[18:19], 2, v[23:24]
	v_mov_b32_e32 v3, s9
	v_add_co_u32_e64 v18, s[0:1], s8, v18
	v_addc_co_u32_e64 v19, s[0:1], v3, v19, s[0:1]
	v_add_u16_e32 v3, 34, v6
	s_movk_i32 s0, 0xf1
	v_mul_lo_u16_sdwa v20, v3, s0 dst_sel:DWORD dst_unused:UNUSED_PAD src0_sel:BYTE_0 src1_sel:DWORD
	v_lshrrev_b16_e32 v24, 12, v20
	v_mul_lo_u16_e32 v20, 17, v24
	v_sub_u16_e32 v25, v3, v20
	v_add_u16_e32 v3, 0x44, v6
	v_mul_lo_u16_sdwa v20, v3, s0 dst_sel:DWORD dst_unused:UNUSED_PAD src0_sel:BYTE_0 src1_sel:DWORD
	v_lshrrev_b16_e32 v28, 12, v20
	v_mul_lo_u16_e32 v20, 17, v28
	v_sub_u16_e32 v29, v3, v20
	v_add_u16_e32 v3, 0x66, v6
	v_mul_lo_u16_sdwa v20, v3, s0 dst_sel:DWORD dst_unused:UNUSED_PAD src0_sel:BYTE_0 src1_sel:DWORD
	v_lshrrev_b16_e32 v31, 12, v20
	v_mul_lo_u16_e32 v20, 17, v31
	v_mov_b32_e32 v26, 2
	v_sub_u16_e32 v32, v3, v20
	v_lshlrev_b32_sdwa v27, v26, v25 dst_sel:DWORD dst_unused:UNUSED_PAD src0_sel:DWORD src1_sel:BYTE_0
	global_load_dword v21, v[18:19], off
	v_lshlrev_b32_sdwa v18, v26, v32 dst_sel:DWORD dst_unused:UNUSED_PAD src0_sel:DWORD src1_sel:BYTE_0
	v_lshlrev_b32_sdwa v30, v26, v29 dst_sel:DWORD dst_unused:UNUSED_PAD src0_sel:DWORD src1_sel:BYTE_0
	global_load_dword v22, v27, s[8:9]
	global_load_dword v20, v30, s[8:9]
	;; [unrolled: 1-line block ×3, first 2 shown]
	v_add_u16_e32 v18, 0x88, v6
	v_mul_lo_u16_sdwa v19, v18, s0 dst_sel:DWORD dst_unused:UNUSED_PAD src0_sel:BYTE_0 src1_sel:DWORD
	v_lshrrev_b16_e32 v19, 12, v19
	v_mul_lo_u16_e32 v19, 17, v19
	v_sub_u16_e32 v18, v18, v19
	v_lshlrev_b32_sdwa v19, v26, v18 dst_sel:DWORD dst_unused:UNUSED_PAD src0_sel:DWORD src1_sel:BYTE_0
	global_load_dword v19, v19, s[8:9]
	v_mov_b32_e32 v26, 0x44
	v_cmp_lt_u32_e64 s[0:1], 16, v6
	s_movk_i32 s4, 0x44
	v_mov_b32_e32 v27, 1
	v_cndmask_b32_e64 v26, 0, v26, s[0:1]
	v_add_u32_e32 v26, 0, v26
	v_lshlrev_b32_e32 v23, 1, v23
	v_mad_u32_u24 v24, v24, s4, 0
	v_mad_u32_u24 v28, v28, s4, 0
	v_lshlrev_b32_sdwa v25, v27, v25 dst_sel:DWORD dst_unused:UNUSED_PAD src0_sel:DWORD src1_sel:BYTE_0
	v_lshlrev_b32_sdwa v29, v27, v29 dst_sel:DWORD dst_unused:UNUSED_PAD src0_sel:DWORD src1_sel:BYTE_0
	v_add3_u32 v23, v26, v23, v9
	v_mad_u32_u24 v30, v31, s4, 0
	v_lshlrev_b32_sdwa v31, v27, v32 dst_sel:DWORD dst_unused:UNUSED_PAD src0_sel:DWORD src1_sel:BYTE_0
	v_add3_u32 v26, v24, v25, v9
	v_add3_u32 v25, v28, v29, v9
	;; [unrolled: 1-line block ×3, first 2 shown]
	s_waitcnt vmcnt(0) lgkmcnt(0)
	s_barrier
	v_mul_f16_sdwa v28, v17, v21 dst_sel:DWORD dst_unused:UNUSED_PAD src0_sel:DWORD src1_sel:WORD_1
	v_fma_f16 v28, v46, v21, v28
	v_mul_f16_sdwa v29, v16, v22 dst_sel:DWORD dst_unused:UNUSED_PAD src0_sel:DWORD src1_sel:WORD_1
	v_mul_f16_sdwa v30, v14, v20 dst_sel:DWORD dst_unused:UNUSED_PAD src0_sel:DWORD src1_sel:WORD_1
	;; [unrolled: 1-line block ×3, first 2 shown]
	v_fma_f16 v29, v45, v22, v29
	v_fma_f16 v30, v43, v20, v30
	;; [unrolled: 1-line block ×3, first 2 shown]
	v_sub_f16_e32 v28, v49, v28
	v_fma_f16 v32, v49, 2.0, -v28
	v_sub_f16_e32 v29, v47, v29
	v_sub_f16_e32 v30, v48, v30
	;; [unrolled: 1-line block ×3, first 2 shown]
	ds_write_b16 v23, v28 offset:34
	v_fma_f16 v28, v47, 2.0, -v29
	v_fma_f16 v33, v48, 2.0, -v30
	v_fma_f16 v34, v50, 2.0, -v31
	ds_write_b16 v23, v32
	ds_write_b16 v26, v29 offset:34
	ds_write_b16 v26, v28
	ds_write_b16 v25, v33
	ds_write_b16 v25, v30 offset:34
	ds_write_b16 v24, v34
	ds_write_b16 v24, v31 offset:34
	s_and_saveexec_b64 s[0:1], s[2:3]
	s_cbranch_execz .LBB0_22
; %bb.21:
	v_mul_f16_sdwa v28, v2, v19 dst_sel:DWORD dst_unused:UNUSED_PAD src0_sel:DWORD src1_sel:WORD_1
	v_fma_f16 v28, v8, v19, v28
	v_sub_f16_e32 v28, v10, v28
	v_lshlrev_b32_sdwa v27, v27, v18 dst_sel:DWORD dst_unused:UNUSED_PAD src0_sel:DWORD src1_sel:BYTE_0
	v_fma_f16 v10, v10, 2.0, -v28
	v_add3_u32 v27, 0, v27, v9
	ds_write_b16 v27, v10 offset:544
	ds_write_b16 v27, v28 offset:578
.LBB0_22:
	s_or_b64 exec, exec, s[0:1]
	v_mul_f16_sdwa v10, v46, v21 dst_sel:DWORD dst_unused:UNUSED_PAD src0_sel:DWORD src1_sel:WORD_1
	v_fma_f16 v10, v17, v21, -v10
	v_mul_f16_sdwa v17, v45, v22 dst_sel:DWORD dst_unused:UNUSED_PAD src0_sel:DWORD src1_sel:WORD_1
	v_fma_f16 v16, v16, v22, -v17
	;; [unrolled: 2-line block ×4, first 2 shown]
	v_sub_f16_e32 v17, v0, v10
	v_sub_f16_e32 v21, v11, v16
	;; [unrolled: 1-line block ×4, first 2 shown]
	v_fma_f16 v20, v0, 2.0, -v17
	v_fma_f16 v22, v11, 2.0, -v21
	;; [unrolled: 1-line block ×4, first 2 shown]
	s_waitcnt lgkmcnt(0)
	s_barrier
	ds_read_u16 v0, v38
	ds_read_u16 v3, v42 offset:68
	ds_read_u16 v11, v42 offset:136
	;; [unrolled: 1-line block ×8, first 2 shown]
	s_waitcnt lgkmcnt(0)
	s_barrier
	ds_write_b16 v23, v20
	ds_write_b16 v23, v17 offset:34
	ds_write_b16 v26, v22
	ds_write_b16 v26, v21 offset:34
	;; [unrolled: 2-line block ×4, first 2 shown]
	s_and_saveexec_b64 s[0:1], s[2:3]
	s_cbranch_execz .LBB0_24
; %bb.23:
	v_mul_f16_sdwa v8, v8, v19 dst_sel:DWORD dst_unused:UNUSED_PAD src0_sel:DWORD src1_sel:WORD_1
	v_fma_f16 v2, v2, v19, -v8
	v_mov_b32_e32 v8, 1
	v_sub_f16_e32 v2, v1, v2
	v_lshlrev_b32_sdwa v8, v8, v18 dst_sel:DWORD dst_unused:UNUSED_PAD src0_sel:DWORD src1_sel:BYTE_0
	v_fma_f16 v1, v1, 2.0, -v2
	v_add3_u32 v8, 0, v8, v9
	ds_write_b16 v8, v1 offset:544
	ds_write_b16 v8, v2 offset:578
.LBB0_24:
	s_or_b64 exec, exec, s[0:1]
	s_waitcnt lgkmcnt(0)
	s_barrier
	s_and_saveexec_b64 s[0:1], vcc
	s_cbranch_execz .LBB0_26
; %bb.25:
	v_lshlrev_b32_e32 v1, 3, v6
	v_mov_b32_e32 v2, 0
	v_lshlrev_b64 v[8:9], 2, v[1:2]
	v_mov_b32_e32 v1, s9
	v_add_co_u32_e32 v8, vcc, s8, v8
	v_addc_co_u32_e32 v9, vcc, v1, v9, vcc
	global_load_dwordx4 v[17:20], v[8:9], off offset:68
	global_load_dwordx4 v[21:24], v[8:9], off offset:84
	ds_read_u16 v1, v42 offset:544
	ds_read_u16 v6, v42 offset:476
	;; [unrolled: 1-line block ×8, first 2 shown]
	ds_read_u16 v29, v38
	s_mov_b32 s1, 0xb924
	s_movk_i32 s2, 0x3aee
	s_movk_i32 s4, 0x3a21
	;; [unrolled: 1-line block ×5, first 2 shown]
	s_mov_b32 s6, 0xbb84
	s_waitcnt vmcnt(1)
	v_mul_f16_sdwa v30, v3, v17 dst_sel:DWORD dst_unused:UNUSED_PAD src0_sel:DWORD src1_sel:WORD_1
	s_waitcnt vmcnt(0)
	v_mul_f16_sdwa v31, v13, v24 dst_sel:DWORD dst_unused:UNUSED_PAD src0_sel:DWORD src1_sel:WORD_1
	v_mul_f16_sdwa v34, v11, v18 dst_sel:DWORD dst_unused:UNUSED_PAD src0_sel:DWORD src1_sel:WORD_1
	;; [unrolled: 1-line block ×5, first 2 shown]
	s_waitcnt lgkmcnt(7)
	v_mul_f16_sdwa v40, v6, v23 dst_sel:DWORD dst_unused:UNUSED_PAD src0_sel:DWORD src1_sel:WORD_1
	s_waitcnt lgkmcnt(2)
	v_mul_f16_sdwa v41, v27, v18 dst_sel:DWORD dst_unused:UNUSED_PAD src0_sel:DWORD src1_sel:WORD_1
	v_mul_f16_sdwa v43, v26, v19 dst_sel:DWORD dst_unused:UNUSED_PAD src0_sel:DWORD src1_sel:WORD_1
	;; [unrolled: 1-line block ×3, first 2 shown]
	s_waitcnt lgkmcnt(1)
	v_mul_f16_sdwa v45, v28, v17 dst_sel:DWORD dst_unused:UNUSED_PAD src0_sel:DWORD src1_sel:WORD_1
	v_fma_f16 v28, v28, v17, -v30
	v_fma_f16 v1, v1, v24, -v31
	;; [unrolled: 1-line block ×4, first 2 shown]
	v_mul_f16_sdwa v42, v9, v22 dst_sel:DWORD dst_unused:UNUSED_PAD src0_sel:DWORD src1_sel:WORD_1
	v_fma_f16 v26, v26, v19, -v32
	v_fma_f16 v9, v9, v22, -v33
	v_fma_f16 v10, v10, v19, v43
	v_fma_f16 v3, v3, v17, v45
	v_sub_f16_e32 v17, v28, v1
	v_sub_f16_e32 v19, v27, v6
	v_add_f16_e32 v6, v27, v6
	v_add_f16_e32 v1, v28, v1
	v_mul_f16_sdwa v36, v14, v20 dst_sel:DWORD dst_unused:UNUSED_PAD src0_sel:DWORD src1_sel:WORD_1
	v_mul_f16_sdwa v37, v15, v21 dst_sel:DWORD dst_unused:UNUSED_PAD src0_sel:DWORD src1_sel:WORD_1
	v_fma_f16 v11, v11, v18, v41
	v_sub_f16_e32 v18, v26, v9
	v_add_f16_e32 v9, v26, v9
	v_add_f16_e32 v30, v1, v6
	v_mul_f16_sdwa v38, v25, v21 dst_sel:DWORD dst_unused:UNUSED_PAD src0_sel:DWORD src1_sel:WORD_1
	v_mul_f16_sdwa v39, v8, v20 dst_sel:DWORD dst_unused:UNUSED_PAD src0_sel:DWORD src1_sel:WORD_1
	v_fma_f16 v8, v8, v20, -v36
	v_fma_f16 v25, v25, v21, -v37
	v_fma_f16 v13, v13, v24, v44
	v_add_f16_e32 v31, v9, v30
	v_fma_f16 v14, v14, v20, v39
	v_fma_f16 v16, v16, v23, v40
	v_sub_f16_e32 v20, v8, v25
	v_add_f16_e32 v24, v3, v13
	v_sub_f16_e32 v3, v3, v13
	v_add_f16_e32 v13, v8, v25
	v_add_f16_e32 v8, v31, v8
	v_fma_f16 v12, v12, v22, v42
	v_add_f16_e32 v22, v11, v16
	v_add_f16_e32 v8, v8, v25
	;; [unrolled: 1-line block ×3, first 2 shown]
	s_waitcnt lgkmcnt(0)
	v_add_f16_e32 v25, v29, v8
	v_add_f16_e32 v8, v24, v22
	v_fma_f16 v15, v15, v21, v38
	v_add_f16_e32 v31, v23, v8
	v_add_f16_e32 v21, v14, v15
	v_sub_f16_e32 v10, v10, v12
	v_sub_f16_e32 v12, v14, v15
	v_add_f16_e32 v14, v31, v14
	v_add_f16_e32 v14, v14, v15
	v_add_f16_e32 v15, v0, v23
	v_add_f16_e32 v8, v8, v21
	v_sub_f16_e32 v11, v11, v16
	v_mul_f16_e32 v16, 0x3be1, v20
	v_mul_f16_e32 v27, 0x3be1, v12
	v_fma_f16 v8, v8, -0.5, v15
	v_add_f16_e32 v15, v17, v20
	v_fma_f16 v16, v19, s1, -v16
	v_fma_f16 v27, v11, s1, -v27
	v_sub_f16_e32 v15, v15, v19
	s_mov_b32 s1, 0xbaee
	v_mul_f16_e32 v31, 0x3aee, v15
	v_fma_f16 v15, v15, s1, v8
	v_add_f16_e32 v8, v3, v12
	v_add_f16_e32 v33, v9, v29
	;; [unrolled: 1-line block ×3, first 2 shown]
	v_sub_f16_e32 v8, v8, v11
	v_fma_f16 v30, v30, -0.5, v33
	v_mul_f16_e32 v32, 0x3aee, v8
	v_fma_f16 v30, v8, s2, v30
	v_fma_f16 v8, v21, s4, v0
	v_mul_f16_e32 v33, 0xb924, v20
	v_fma_f16 v8, v24, s5, v8
	v_fma_f16 v33, v17, s0, v33
	v_fma_f16 v8, v23, -0.5, v8
	v_fma_f16 v33, v18, s1, v33
	v_fma_f16 v8, v22, s6, v8
	;; [unrolled: 1-line block ×3, first 2 shown]
	v_sub_f16_e32 v34, v8, v33
	v_mul_f16_e32 v8, 0xb924, v12
	v_fma_f16 v35, v13, s4, v29
	v_fma_f16 v8, v3, s0, v8
	;; [unrolled: 1-line block ×4, first 2 shown]
	v_fma_f16 v35, v9, -0.5, v35
	v_fma_f16 v8, v11, s3, v8
	v_fma_f16 v35, v6, s6, v35
	v_add_f16_e32 v35, v8, v35
	v_fma_f16 v26, v22, s4, v0
	v_add_f16_e32 v14, v0, v14
	v_fma_f16 v36, v8, -2.0, v35
	v_mul_f16_e32 v8, 0x3be1, v19
	s_movk_i32 s0, 0x3924
	v_fma_f16 v0, v24, s4, v0
	v_fma_f16 v28, v6, s4, v29
	;; [unrolled: 1-line block ×6, first 2 shown]
	v_fma_f16 v0, v23, -0.5, v0
	v_fma_f16 v16, v18, s2, v16
	v_fma_f16 v28, v9, -0.5, v28
	v_fma_f16 v8, v20, s3, v8
	v_fma_f16 v0, v21, s6, v0
	;; [unrolled: 1-line block ×4, first 2 shown]
	v_sub_f16_e32 v17, v0, v8
	v_mul_f16_e32 v0, 0x3be1, v11
	v_fma_f16 v1, v1, s4, v29
	v_fma_f16 v0, v3, s0, v0
	;; [unrolled: 1-line block ×4, first 2 shown]
	v_fma_f16 v1, v9, -0.5, v1
	v_fma_f16 v27, v10, s2, v27
	v_fma_f16 v0, v12, s3, v0
	;; [unrolled: 1-line block ×4, first 2 shown]
	v_add_f16_e32 v3, v0, v1
	v_fma_f16 v6, v0, -2.0, v3
	v_lshlrev_b64 v[0:1], 2, v[4:5]
	v_fma_f16 v18, v8, 2.0, v17
	v_mov_b32_e32 v8, v2
	v_mov_b32_e32 v2, s13
	v_add_co_u32_e32 v4, vcc, s12, v0
	v_addc_co_u32_e32 v2, vcc, v2, v1, vcc
	v_lshlrev_b64 v[0:1], 2, v[7:8]
	v_fma_f16 v26, v21, s5, v26
	v_add_co_u32_e32 v0, vcc, v4, v0
	v_addc_co_u32_e32 v1, vcc, v2, v1, vcc
	v_pack_b32_f16 v2, v14, v25
	v_fma_f16 v26, v23, -0.5, v26
	global_store_dword v[0:1], v2, off
	v_pack_b32_f16 v2, v17, v3
	v_fma_f16 v26, v24, s6, v26
	global_store_dword v[0:1], v2, off offset:136
	v_pack_b32_f16 v2, v34, v35
	v_sub_f16_e32 v26, v26, v16
	v_add_f16_e32 v28, v27, v28
	global_store_dword v[0:1], v2, off offset:272
	v_pack_b32_f16 v2, v15, v30
	v_fma_f16 v16, v16, 2.0, v26
	v_fma_f16 v27, v27, -2.0, v28
	global_store_dword v[0:1], v2, off offset:408
	v_pack_b32_f16 v2, v26, v28
	v_fma_f16 v31, v31, 2.0, v15
	v_fma_f16 v32, v32, -2.0, v30
	global_store_dword v[0:1], v2, off offset:544
	v_pack_b32_f16 v2, v16, v27
	v_fma_f16 v33, v33, 2.0, v34
	global_store_dword v[0:1], v2, off offset:680
	v_pack_b32_f16 v2, v31, v32
	global_store_dword v[0:1], v2, off offset:816
	v_pack_b32_f16 v2, v33, v36
	;; [unrolled: 2-line block ×3, first 2 shown]
	global_store_dword v[0:1], v2, off offset:1088
.LBB0_26:
	s_endpgm
	.section	.rodata,"a",@progbits
	.p2align	6, 0x0
	.amdhsa_kernel fft_rtc_back_len306_factors_17_2_9_wgs_238_tpt_34_halfLds_half_ip_CI_unitstride_sbrr_dirReg
		.amdhsa_group_segment_fixed_size 0
		.amdhsa_private_segment_fixed_size 0
		.amdhsa_kernarg_size 88
		.amdhsa_user_sgpr_count 6
		.amdhsa_user_sgpr_private_segment_buffer 1
		.amdhsa_user_sgpr_dispatch_ptr 0
		.amdhsa_user_sgpr_queue_ptr 0
		.amdhsa_user_sgpr_kernarg_segment_ptr 1
		.amdhsa_user_sgpr_dispatch_id 0
		.amdhsa_user_sgpr_flat_scratch_init 0
		.amdhsa_user_sgpr_private_segment_size 0
		.amdhsa_uses_dynamic_stack 0
		.amdhsa_system_sgpr_private_segment_wavefront_offset 0
		.amdhsa_system_sgpr_workgroup_id_x 1
		.amdhsa_system_sgpr_workgroup_id_y 0
		.amdhsa_system_sgpr_workgroup_id_z 0
		.amdhsa_system_sgpr_workgroup_info 0
		.amdhsa_system_vgpr_workitem_id 0
		.amdhsa_next_free_vgpr 86
		.amdhsa_next_free_sgpr 25
		.amdhsa_reserve_vcc 1
		.amdhsa_reserve_flat_scratch 0
		.amdhsa_float_round_mode_32 0
		.amdhsa_float_round_mode_16_64 0
		.amdhsa_float_denorm_mode_32 3
		.amdhsa_float_denorm_mode_16_64 3
		.amdhsa_dx10_clamp 1
		.amdhsa_ieee_mode 1
		.amdhsa_fp16_overflow 0
		.amdhsa_exception_fp_ieee_invalid_op 0
		.amdhsa_exception_fp_denorm_src 0
		.amdhsa_exception_fp_ieee_div_zero 0
		.amdhsa_exception_fp_ieee_overflow 0
		.amdhsa_exception_fp_ieee_underflow 0
		.amdhsa_exception_fp_ieee_inexact 0
		.amdhsa_exception_int_div_zero 0
	.end_amdhsa_kernel
	.text
.Lfunc_end0:
	.size	fft_rtc_back_len306_factors_17_2_9_wgs_238_tpt_34_halfLds_half_ip_CI_unitstride_sbrr_dirReg, .Lfunc_end0-fft_rtc_back_len306_factors_17_2_9_wgs_238_tpt_34_halfLds_half_ip_CI_unitstride_sbrr_dirReg
                                        ; -- End function
	.section	.AMDGPU.csdata,"",@progbits
; Kernel info:
; codeLenInByte = 9052
; NumSgprs: 29
; NumVgprs: 86
; ScratchSize: 0
; MemoryBound: 0
; FloatMode: 240
; IeeeMode: 1
; LDSByteSize: 0 bytes/workgroup (compile time only)
; SGPRBlocks: 3
; VGPRBlocks: 21
; NumSGPRsForWavesPerEU: 29
; NumVGPRsForWavesPerEU: 86
; Occupancy: 2
; WaveLimiterHint : 1
; COMPUTE_PGM_RSRC2:SCRATCH_EN: 0
; COMPUTE_PGM_RSRC2:USER_SGPR: 6
; COMPUTE_PGM_RSRC2:TRAP_HANDLER: 0
; COMPUTE_PGM_RSRC2:TGID_X_EN: 1
; COMPUTE_PGM_RSRC2:TGID_Y_EN: 0
; COMPUTE_PGM_RSRC2:TGID_Z_EN: 0
; COMPUTE_PGM_RSRC2:TIDIG_COMP_CNT: 0
	.type	__hip_cuid_42656c23e2158949,@object ; @__hip_cuid_42656c23e2158949
	.section	.bss,"aw",@nobits
	.globl	__hip_cuid_42656c23e2158949
__hip_cuid_42656c23e2158949:
	.byte	0                               ; 0x0
	.size	__hip_cuid_42656c23e2158949, 1

	.ident	"AMD clang version 19.0.0git (https://github.com/RadeonOpenCompute/llvm-project roc-6.4.0 25133 c7fe45cf4b819c5991fe208aaa96edf142730f1d)"
	.section	".note.GNU-stack","",@progbits
	.addrsig
	.addrsig_sym __hip_cuid_42656c23e2158949
	.amdgpu_metadata
---
amdhsa.kernels:
  - .args:
      - .actual_access:  read_only
        .address_space:  global
        .offset:         0
        .size:           8
        .value_kind:     global_buffer
      - .offset:         8
        .size:           8
        .value_kind:     by_value
      - .actual_access:  read_only
        .address_space:  global
        .offset:         16
        .size:           8
        .value_kind:     global_buffer
      - .actual_access:  read_only
        .address_space:  global
        .offset:         24
        .size:           8
        .value_kind:     global_buffer
      - .offset:         32
        .size:           8
        .value_kind:     by_value
      - .actual_access:  read_only
        .address_space:  global
        .offset:         40
        .size:           8
        .value_kind:     global_buffer
      - .actual_access:  read_only
        .address_space:  global
        .offset:         48
        .size:           8
        .value_kind:     global_buffer
      - .offset:         56
        .size:           4
        .value_kind:     by_value
      - .actual_access:  read_only
        .address_space:  global
        .offset:         64
        .size:           8
        .value_kind:     global_buffer
      - .actual_access:  read_only
        .address_space:  global
        .offset:         72
        .size:           8
        .value_kind:     global_buffer
      - .address_space:  global
        .offset:         80
        .size:           8
        .value_kind:     global_buffer
    .group_segment_fixed_size: 0
    .kernarg_segment_align: 8
    .kernarg_segment_size: 88
    .language:       OpenCL C
    .language_version:
      - 2
      - 0
    .max_flat_workgroup_size: 238
    .name:           fft_rtc_back_len306_factors_17_2_9_wgs_238_tpt_34_halfLds_half_ip_CI_unitstride_sbrr_dirReg
    .private_segment_fixed_size: 0
    .sgpr_count:     29
    .sgpr_spill_count: 0
    .symbol:         fft_rtc_back_len306_factors_17_2_9_wgs_238_tpt_34_halfLds_half_ip_CI_unitstride_sbrr_dirReg.kd
    .uniform_work_group_size: 1
    .uses_dynamic_stack: false
    .vgpr_count:     86
    .vgpr_spill_count: 0
    .wavefront_size: 64
amdhsa.target:   amdgcn-amd-amdhsa--gfx906
amdhsa.version:
  - 1
  - 2
...

	.end_amdgpu_metadata
